;; amdgpu-corpus repo=ROCm/rocFFT kind=compiled arch=gfx950 opt=O3
	.text
	.amdgcn_target "amdgcn-amd-amdhsa--gfx950"
	.amdhsa_code_object_version 6
	.protected	fft_rtc_fwd_len726_factors_11_6_11_wgs_132_tpt_66_sp_ip_CI_unitstride_sbrr_C2R_dirReg ; -- Begin function fft_rtc_fwd_len726_factors_11_6_11_wgs_132_tpt_66_sp_ip_CI_unitstride_sbrr_C2R_dirReg
	.globl	fft_rtc_fwd_len726_factors_11_6_11_wgs_132_tpt_66_sp_ip_CI_unitstride_sbrr_C2R_dirReg
	.p2align	8
	.type	fft_rtc_fwd_len726_factors_11_6_11_wgs_132_tpt_66_sp_ip_CI_unitstride_sbrr_C2R_dirReg,@function
fft_rtc_fwd_len726_factors_11_6_11_wgs_132_tpt_66_sp_ip_CI_unitstride_sbrr_C2R_dirReg: ; @fft_rtc_fwd_len726_factors_11_6_11_wgs_132_tpt_66_sp_ip_CI_unitstride_sbrr_C2R_dirReg
; %bb.0:
	s_load_dwordx2 s[8:9], s[0:1], 0x50
	s_load_dwordx4 s[4:7], s[0:1], 0x0
	s_load_dwordx2 s[10:11], s[0:1], 0x18
	v_mul_u32_u24_e32 v1, 0x3e1, v0
	v_lshrrev_b32_e32 v1, 16, v1
	v_lshl_add_u32 v6, s2, 1, v1
	v_mov_b32_e32 v4, 0
	s_waitcnt lgkmcnt(0)
	v_cmp_lt_u64_e64 s[2:3], s[6:7], 2
	v_mov_b32_e32 v7, v4
	s_and_b64 vcc, exec, s[2:3]
	v_mov_b64_e32 v[2:3], 0
	s_cbranch_vccnz .LBB0_8
; %bb.1:
	s_load_dwordx2 s[2:3], s[0:1], 0x10
	s_add_u32 s12, s10, 8
	s_addc_u32 s13, s11, 0
	s_mov_b64 s[14:15], 1
	v_mov_b64_e32 v[2:3], 0
	s_waitcnt lgkmcnt(0)
	s_add_u32 s16, s2, 8
	s_addc_u32 s17, s3, 0
.LBB0_2:                                ; =>This Inner Loop Header: Depth=1
	s_load_dwordx2 s[18:19], s[16:17], 0x0
                                        ; implicit-def: $vgpr8_vgpr9
	s_waitcnt lgkmcnt(0)
	v_or_b32_e32 v5, s19, v7
	v_cmp_ne_u64_e32 vcc, 0, v[4:5]
	s_and_saveexec_b64 s[2:3], vcc
	s_xor_b64 s[20:21], exec, s[2:3]
	s_cbranch_execz .LBB0_4
; %bb.3:                                ;   in Loop: Header=BB0_2 Depth=1
	v_cvt_f32_u32_e32 v5, s18
	v_cvt_f32_u32_e32 v8, s19
	s_sub_u32 s2, 0, s18
	s_subb_u32 s3, 0, s19
	v_fmac_f32_e32 v5, 0x4f800000, v8
	v_rcp_f32_e32 v5, v5
	s_nop 0
	v_mul_f32_e32 v5, 0x5f7ffffc, v5
	v_mul_f32_e32 v8, 0x2f800000, v5
	v_trunc_f32_e32 v8, v8
	v_fmac_f32_e32 v5, 0xcf800000, v8
	v_cvt_u32_f32_e32 v12, v8
	v_cvt_u32_f32_e32 v5, v5
	v_mul_lo_u32 v8, s2, v12
	v_mul_hi_u32 v10, s2, v5
	v_mul_lo_u32 v9, s3, v5
	v_add_u32_e32 v10, v10, v8
	v_mul_lo_u32 v13, s2, v5
	v_add_u32_e32 v14, v10, v9
	v_mul_hi_u32 v8, v5, v13
	v_mul_hi_u32 v11, v5, v14
	v_mul_lo_u32 v10, v5, v14
	v_mov_b32_e32 v9, v4
	v_lshl_add_u64 v[8:9], v[8:9], 0, v[10:11]
	v_mul_hi_u32 v11, v12, v13
	v_mul_lo_u32 v13, v12, v13
	v_add_co_u32_e32 v8, vcc, v8, v13
	v_mul_hi_u32 v10, v12, v14
	s_nop 0
	v_addc_co_u32_e32 v8, vcc, v9, v11, vcc
	v_mov_b32_e32 v9, v4
	s_nop 0
	v_addc_co_u32_e32 v11, vcc, 0, v10, vcc
	v_mul_lo_u32 v10, v12, v14
	v_lshl_add_u64 v[8:9], v[8:9], 0, v[10:11]
	v_add_co_u32_e32 v5, vcc, v5, v8
	v_mul_lo_u32 v10, s2, v5
	s_nop 0
	v_addc_co_u32_e32 v12, vcc, v12, v9, vcc
	v_mul_lo_u32 v8, s2, v12
	v_mul_hi_u32 v9, s2, v5
	v_add_u32_e32 v8, v9, v8
	v_mul_lo_u32 v9, s3, v5
	v_add_u32_e32 v13, v8, v9
	v_mul_hi_u32 v15, v12, v10
	v_mul_lo_u32 v16, v12, v10
	v_mul_hi_u32 v9, v5, v13
	v_mul_lo_u32 v8, v5, v13
	v_mul_hi_u32 v10, v5, v10
	v_mov_b32_e32 v11, v4
	v_lshl_add_u64 v[8:9], v[10:11], 0, v[8:9]
	v_add_co_u32_e32 v8, vcc, v8, v16
	v_mul_hi_u32 v14, v12, v13
	s_nop 0
	v_addc_co_u32_e32 v8, vcc, v9, v15, vcc
	v_mul_lo_u32 v10, v12, v13
	s_nop 0
	v_addc_co_u32_e32 v11, vcc, 0, v14, vcc
	v_mov_b32_e32 v9, v4
	v_lshl_add_u64 v[8:9], v[8:9], 0, v[10:11]
	v_add_co_u32_e32 v5, vcc, v5, v8
	v_mul_hi_u32 v10, v6, v5
	s_nop 0
	v_addc_co_u32_e32 v12, vcc, v12, v9, vcc
	v_mad_u64_u32 v[8:9], s[2:3], v6, v12, 0
	v_mov_b32_e32 v11, v4
	v_lshl_add_u64 v[8:9], v[10:11], 0, v[8:9]
	v_mad_u64_u32 v[10:11], s[2:3], v7, v12, 0
	v_mad_u64_u32 v[12:13], s[2:3], v7, v5, 0
	v_add_co_u32_e32 v5, vcc, v8, v12
	s_nop 1
	v_addc_co_u32_e32 v8, vcc, v9, v13, vcc
	v_mov_b32_e32 v9, v4
	s_nop 0
	v_addc_co_u32_e32 v11, vcc, 0, v11, vcc
	v_lshl_add_u64 v[8:9], v[8:9], 0, v[10:11]
	v_mul_lo_u32 v5, s19, v8
	v_mul_lo_u32 v12, s18, v9
	v_mad_u64_u32 v[10:11], s[2:3], s18, v8, 0
	v_add3_u32 v5, v11, v12, v5
	v_sub_u32_e32 v11, v7, v5
	v_mov_b32_e32 v12, s19
	v_sub_co_u32_e32 v14, vcc, v6, v10
	s_nop 1
	v_subb_co_u32_e64 v10, s[2:3], v11, v12, vcc
	v_subrev_co_u32_e64 v11, s[2:3], s18, v14
	v_subb_co_u32_e32 v5, vcc, v7, v5, vcc
	s_nop 0
	v_subbrev_co_u32_e64 v10, s[2:3], 0, v10, s[2:3]
	v_cmp_le_u32_e64 s[2:3], s19, v10
	v_cmp_le_u32_e32 vcc, s19, v5
	s_nop 0
	v_cndmask_b32_e64 v12, 0, -1, s[2:3]
	v_cmp_le_u32_e64 s[2:3], s18, v11
	s_nop 1
	v_cndmask_b32_e64 v11, 0, -1, s[2:3]
	v_cmp_eq_u32_e64 s[2:3], s19, v10
	s_nop 1
	v_cndmask_b32_e64 v15, v12, v11, s[2:3]
	v_lshl_add_u64 v[10:11], v[8:9], 0, 2
	v_lshl_add_u64 v[12:13], v[8:9], 0, 1
	v_cmp_ne_u32_e64 s[2:3], 0, v15
	s_nop 1
	v_cndmask_b32_e64 v11, v13, v11, s[2:3]
	v_cndmask_b32_e64 v13, 0, -1, vcc
	v_cmp_le_u32_e32 vcc, s18, v14
	s_nop 1
	v_cndmask_b32_e64 v14, 0, -1, vcc
	v_cmp_eq_u32_e32 vcc, s19, v5
	s_nop 1
	v_cndmask_b32_e32 v5, v13, v14, vcc
	v_cmp_ne_u32_e32 vcc, 0, v5
	v_cndmask_b32_e64 v5, v12, v10, s[2:3]
	s_nop 0
	v_cndmask_b32_e32 v9, v9, v11, vcc
	v_cndmask_b32_e32 v8, v8, v5, vcc
.LBB0_4:                                ;   in Loop: Header=BB0_2 Depth=1
	s_andn2_saveexec_b64 s[2:3], s[20:21]
	s_cbranch_execz .LBB0_6
; %bb.5:                                ;   in Loop: Header=BB0_2 Depth=1
	v_cvt_f32_u32_e32 v5, s18
	s_sub_i32 s20, 0, s18
	v_rcp_iflag_f32_e32 v5, v5
	s_nop 0
	v_mul_f32_e32 v5, 0x4f7ffffe, v5
	v_cvt_u32_f32_e32 v5, v5
	v_mul_lo_u32 v8, s20, v5
	v_mul_hi_u32 v8, v5, v8
	v_add_u32_e32 v5, v5, v8
	v_mul_hi_u32 v5, v6, v5
	v_mul_lo_u32 v8, v5, s18
	v_sub_u32_e32 v8, v6, v8
	v_add_u32_e32 v9, 1, v5
	v_subrev_u32_e32 v10, s18, v8
	v_cmp_le_u32_e32 vcc, s18, v8
	s_nop 1
	v_cndmask_b32_e32 v8, v8, v10, vcc
	v_cndmask_b32_e32 v5, v5, v9, vcc
	v_add_u32_e32 v9, 1, v5
	v_cmp_le_u32_e32 vcc, s18, v8
	s_nop 1
	v_cndmask_b32_e32 v8, v5, v9, vcc
	v_mov_b32_e32 v9, v4
.LBB0_6:                                ;   in Loop: Header=BB0_2 Depth=1
	s_or_b64 exec, exec, s[2:3]
	v_mad_u64_u32 v[10:11], s[2:3], v8, s18, 0
	s_load_dwordx2 s[2:3], s[12:13], 0x0
	v_mul_lo_u32 v5, v9, s18
	v_mul_lo_u32 v12, v8, s19
	v_add3_u32 v5, v11, v12, v5
	v_sub_co_u32_e32 v6, vcc, v6, v10
	s_add_u32 s14, s14, 1
	s_nop 0
	v_subb_co_u32_e32 v5, vcc, v7, v5, vcc
	s_addc_u32 s15, s15, 0
	s_waitcnt lgkmcnt(0)
	v_mul_lo_u32 v5, s2, v5
	v_mul_lo_u32 v7, s3, v6
	v_mad_u64_u32 v[2:3], s[2:3], s2, v6, v[2:3]
	s_add_u32 s12, s12, 8
	v_add3_u32 v3, v7, v3, v5
	s_addc_u32 s13, s13, 0
	v_mov_b64_e32 v[6:7], s[6:7]
	s_add_u32 s16, s16, 8
	v_cmp_ge_u64_e32 vcc, s[14:15], v[6:7]
	s_addc_u32 s17, s17, 0
	s_cbranch_vccnz .LBB0_9
; %bb.7:                                ;   in Loop: Header=BB0_2 Depth=1
	v_mov_b64_e32 v[6:7], v[8:9]
	s_branch .LBB0_2
.LBB0_8:
	v_mov_b64_e32 v[8:9], v[6:7]
.LBB0_9:
	s_lshl_b64 s[2:3], s[6:7], 3
	s_add_u32 s2, s10, s2
	s_addc_u32 s3, s11, s3
	s_load_dwordx2 s[6:7], s[2:3], 0x0
	s_load_dwordx2 s[10:11], s[0:1], 0x20
	v_and_b32_e32 v1, 1, v1
	v_cmp_eq_u32_e32 vcc, 1, v1
	s_mov_b32 s2, 0x3e0f83f
	s_waitcnt lgkmcnt(0)
	v_mul_lo_u32 v4, s6, v9
	v_mul_lo_u32 v5, s7, v8
	v_mad_u64_u32 v[2:3], s[0:1], s6, v8, v[2:3]
	v_add3_u32 v3, v5, v3, v4
	v_mov_b32_e32 v4, 0x2d7
	v_cndmask_b32_e32 v1, 0, v4, vcc
	v_mul_hi_u32 v4, v0, s2
	v_mul_u32_u24_e32 v4, 0x42, v4
	v_cmp_gt_u64_e64 s[0:1], s[10:11], v[8:9]
	v_sub_u32_e32 v18, v0, v4
	v_lshl_add_u64 v[16:17], v[2:3], 3, s[8:9]
	v_lshlrev_b32_e32 v29, 3, v1
	s_and_saveexec_b64 s[2:3], s[0:1]
	s_cbranch_execz .LBB0_13
; %bb.10:
	v_mov_b32_e32 v19, 0
	v_lshl_add_u64 v[2:3], v[18:19], 3, v[16:17]
	global_load_dwordx2 v[4:5], v[2:3], off
	global_load_dwordx2 v[6:7], v[2:3], off offset:528
	global_load_dwordx2 v[8:9], v[2:3], off offset:1056
	;; [unrolled: 1-line block ×7, first 2 shown]
	v_add_co_u32_e32 v2, vcc, 0x1000, v2
	v_lshlrev_b32_e32 v0, 3, v18
	s_nop 0
	v_addc_co_u32_e32 v3, vcc, 0, v3, vcc
	global_load_dwordx2 v[24:25], v[2:3], off offset:128
	global_load_dwordx2 v[26:27], v[2:3], off offset:656
	;; [unrolled: 1-line block ×3, first 2 shown]
	s_movk_i32 s6, 0x41
	v_add3_u32 v0, 0, v29, v0
	v_cmp_eq_u32_e32 vcc, s6, v18
	v_add_u32_e32 v2, 0x800, v0
	v_add_u32_e32 v3, 0x1000, v0
	s_waitcnt vmcnt(9)
	ds_write2_b64 v0, v[4:5], v[6:7] offset1:66
	s_waitcnt vmcnt(7)
	ds_write2_b64 v0, v[8:9], v[10:11] offset0:132 offset1:198
	s_waitcnt vmcnt(5)
	ds_write2_b64 v2, v[12:13], v[14:15] offset0:8 offset1:74
	;; [unrolled: 2-line block ×4, first 2 shown]
	s_waitcnt vmcnt(0)
	ds_write_b64 v0, v[30:31] offset:5280
	s_and_saveexec_b64 s[6:7], vcc
	s_cbranch_execz .LBB0_12
; %bb.11:
	v_add_co_u32_e32 v2, vcc, 0x1000, v16
	v_mov_b32_e32 v18, 0x41
	s_nop 0
	v_addc_co_u32_e32 v3, vcc, 0, v17, vcc
	global_load_dwordx2 v[2:3], v[2:3], off offset:1712
	s_waitcnt vmcnt(0)
	ds_write_b64 v0, v[2:3] offset:5288
.LBB0_12:
	s_or_b64 exec, exec, s[6:7]
.LBB0_13:
	s_or_b64 exec, exec, s[2:3]
	v_lshl_add_u32 v32, v1, 3, 0
	v_lshlrev_b32_e32 v4, 3, v18
	v_add_u32_e32 v28, v32, v4
	s_waitcnt lgkmcnt(0)
	s_barrier
	v_sub_u32_e32 v5, v32, v4
	ds_read_b32 v1, v28
	ds_read_b32 v2, v5 offset:5808
	s_add_u32 s2, s4, 0x1658
	s_addc_u32 s3, s5, 0
	v_cmp_ne_u32_e32 vcc, 0, v18
	s_waitcnt lgkmcnt(0)
	v_add_f32_e32 v0, v2, v1
	v_sub_f32_e32 v1, v1, v2
                                        ; implicit-def: $vgpr2_vgpr3
	s_and_saveexec_b64 s[6:7], vcc
	s_xor_b64 s[6:7], exec, s[6:7]
	s_cbranch_execz .LBB0_15
; %bb.14:
	v_mov_b32_e32 v19, 0
	v_lshl_add_u64 v[2:3], v[18:19], 3, s[2:3]
	global_load_dwordx2 v[6:7], v[2:3], off
	ds_read_b32 v11, v5 offset:5812
	ds_read_b32 v12, v28 offset:4
	v_mov_b32_e32 v8, v1
	v_mov_b32_e32 v10, v0
	;; [unrolled: 1-line block ×3, first 2 shown]
	v_mov_b64_e32 v[2:3], v[18:19]
	s_waitcnt lgkmcnt(0)
	v_add_f32_e32 v9, v11, v12
	v_sub_f32_e32 v11, v12, v11
	v_mov_b32_e32 v12, v9
	s_waitcnt vmcnt(0)
	v_pk_mul_f32 v[14:15], v[8:9], v[6:7] op_sel:[0,1]
	v_pk_fma_f32 v[8:9], v[8:9], v[6:7], v[10:11] op_sel:[0,1,0]
	v_mov_b32_e32 v1, v15
	v_mov_b32_e32 v15, v11
	v_pk_fma_f32 v[20:21], v[6:7], v[12:13], v[8:9] neg_lo:[1,0,0] neg_hi:[1,0,0]
	v_pk_fma_f32 v[8:9], v[6:7], v[12:13], v[8:9] op_sel_hi:[0,1,1]
	v_pk_add_f32 v[0:1], v[0:1], v[14:15] neg_lo:[0,1] neg_hi:[0,1]
	v_mov_b32_e32 v21, v9
	v_pk_fma_f32 v[0:1], v[6:7], v[12:13], v[0:1] op_sel_hi:[0,1,1]
	ds_write_b64 v5, v[0:1] offset:5808
	v_mov_b64_e32 v[0:1], v[20:21]
.LBB0_15:
	s_andn2_saveexec_b64 s[6:7], s[6:7]
	s_cbranch_execz .LBB0_17
; %bb.16:
	ds_read_b64 v[2:3], v32 offset:2904
	s_mov_b32 s8, 2.0
	s_mov_b32 s9, -2.0
	s_waitcnt lgkmcnt(0)
	v_pk_mul_f32 v[2:3], v[2:3], s[8:9]
	ds_write_b64 v32, v[2:3] offset:2904
	v_mov_b64_e32 v[2:3], 0
.LBB0_17:
	s_or_b64 exec, exec, s[6:7]
	v_lshl_add_u64 v[2:3], v[2:3], 3, s[2:3]
	global_load_dwordx2 v[6:7], v[2:3], off offset:528
	global_load_dwordx2 v[8:9], v[2:3], off offset:1056
	;; [unrolled: 1-line block ×4, first 2 shown]
	ds_write_b64 v28, v[0:1]
	ds_read_b64 v[0:1], v5 offset:5280
	ds_read_b64 v[14:15], v28 offset:528
	v_cmp_gt_u32_e32 vcc, 33, v18
	s_waitcnt lgkmcnt(0)
	v_pk_add_f32 v[20:21], v[14:15], v[0:1]
	v_pk_add_f32 v[0:1], v[14:15], v[0:1] neg_lo:[0,1] neg_hi:[0,1]
	v_mov_b32_e32 v14, v21
	v_mov_b32_e32 v15, v0
	v_mov_b32_e32 v21, v1
	s_waitcnt vmcnt(3)
	v_pk_mul_f32 v[22:23], v[14:15], v[6:7] op_sel:[0,1]
	s_nop 0
	v_pk_add_f32 v[24:25], v[20:21], v[22:23] op_sel:[0,1] op_sel_hi:[1,0]
	v_mov_b32_e32 v21, v22
	v_mov_b32_e32 v0, v23
	v_pk_fma_f32 v[22:23], v[6:7], v[14:15], v[24:25] neg_lo:[1,0,0] neg_hi:[1,0,0]
	v_pk_fma_f32 v[24:25], v[6:7], v[14:15], v[24:25] op_sel_hi:[0,1,1]
	v_pk_add_f32 v[0:1], v[20:21], v[0:1] neg_lo:[0,1] neg_hi:[0,1]
	v_mov_b32_e32 v23, v25
	v_pk_fma_f32 v[0:1], v[6:7], v[14:15], v[0:1] op_sel_hi:[0,1,1]
	ds_write_b64 v28, v[22:23] offset:528
	ds_write_b64 v5, v[0:1] offset:5280
	ds_read_b64 v[0:1], v5 offset:4752
	ds_read_b64 v[6:7], v28 offset:1056
	s_waitcnt lgkmcnt(0)
	v_pk_add_f32 v[14:15], v[6:7], v[0:1]
	v_pk_add_f32 v[0:1], v[6:7], v[0:1] neg_lo:[0,1] neg_hi:[0,1]
	v_mov_b32_e32 v6, v15
	v_mov_b32_e32 v7, v0
	v_mov_b32_e32 v15, v1
	s_waitcnt vmcnt(2)
	v_pk_mul_f32 v[20:21], v[6:7], v[8:9] op_sel:[0,1]
	s_nop 0
	v_pk_add_f32 v[22:23], v[14:15], v[20:21] op_sel:[0,1] op_sel_hi:[1,0]
	v_mov_b32_e32 v15, v20
	v_mov_b32_e32 v0, v21
	v_pk_fma_f32 v[20:21], v[8:9], v[6:7], v[22:23] neg_lo:[1,0,0] neg_hi:[1,0,0]
	v_pk_fma_f32 v[22:23], v[8:9], v[6:7], v[22:23] op_sel_hi:[0,1,1]
	v_pk_add_f32 v[0:1], v[14:15], v[0:1] neg_lo:[0,1] neg_hi:[0,1]
	v_mov_b32_e32 v21, v23
	v_pk_fma_f32 v[0:1], v[8:9], v[6:7], v[0:1] op_sel_hi:[0,1,1]
	ds_write_b64 v28, v[20:21] offset:1056
	ds_write_b64 v5, v[0:1] offset:4752
	ds_read_b64 v[0:1], v5 offset:4224
	ds_read_b64 v[6:7], v28 offset:1584
	;; [unrolled: 21-line block ×3, first 2 shown]
	s_waitcnt lgkmcnt(0)
	v_pk_add_f32 v[8:9], v[6:7], v[0:1]
	v_pk_add_f32 v[0:1], v[6:7], v[0:1] neg_lo:[0,1] neg_hi:[0,1]
	v_mov_b32_e32 v6, v9
	v_mov_b32_e32 v7, v0
	;; [unrolled: 1-line block ×3, first 2 shown]
	s_waitcnt vmcnt(0)
	v_pk_mul_f32 v[10:11], v[6:7], v[12:13] op_sel:[0,1]
	s_nop 0
	v_pk_add_f32 v[14:15], v[8:9], v[10:11] op_sel:[0,1] op_sel_hi:[1,0]
	v_mov_b32_e32 v9, v10
	v_mov_b32_e32 v0, v11
	v_pk_fma_f32 v[10:11], v[12:13], v[6:7], v[14:15] neg_lo:[1,0,0] neg_hi:[1,0,0]
	v_pk_fma_f32 v[14:15], v[12:13], v[6:7], v[14:15] op_sel_hi:[0,1,1]
	v_pk_add_f32 v[0:1], v[8:9], v[0:1] neg_lo:[0,1] neg_hi:[0,1]
	v_mov_b32_e32 v11, v15
	v_pk_fma_f32 v[0:1], v[12:13], v[6:7], v[0:1] op_sel_hi:[0,1,1]
	ds_write_b64 v28, v[10:11] offset:2112
	ds_write_b64 v5, v[0:1] offset:3696
	s_and_saveexec_b64 s[2:3], vcc
	s_cbranch_execz .LBB0_19
; %bb.18:
	global_load_dwordx2 v[0:1], v[2:3], off offset:2640
	ds_read_b64 v[2:3], v5 offset:3168
	ds_read_b64 v[6:7], v28 offset:2640
	s_waitcnt lgkmcnt(0)
	v_pk_add_f32 v[8:9], v[6:7], v[2:3]
	v_pk_add_f32 v[2:3], v[6:7], v[2:3] neg_lo:[0,1] neg_hi:[0,1]
	v_mov_b32_e32 v6, v9
	v_mov_b32_e32 v7, v2
	v_mov_b32_e32 v9, v3
	s_waitcnt vmcnt(0)
	v_pk_mul_f32 v[10:11], v[6:7], v[0:1] op_sel:[0,1]
	s_nop 0
	v_pk_add_f32 v[12:13], v[8:9], v[10:11] op_sel:[0,1] op_sel_hi:[1,0]
	v_mov_b32_e32 v9, v10
	v_mov_b32_e32 v2, v11
	v_pk_fma_f32 v[10:11], v[0:1], v[6:7], v[12:13] neg_lo:[1,0,0] neg_hi:[1,0,0]
	v_pk_fma_f32 v[12:13], v[0:1], v[6:7], v[12:13] op_sel_hi:[0,1,1]
	v_pk_add_f32 v[2:3], v[8:9], v[2:3] neg_lo:[0,1] neg_hi:[0,1]
	v_mov_b32_e32 v11, v13
	v_pk_fma_f32 v[0:1], v[0:1], v[6:7], v[2:3] op_sel_hi:[0,1,1]
	ds_write_b64 v28, v[10:11] offset:2640
	ds_write_b64 v5, v[0:1] offset:3168
.LBB0_19:
	s_or_b64 exec, exec, s[2:3]
	v_add3_u32 v19, 0, v4, v29
	v_add_u32_e32 v0, 0x400, v19
	v_add_u32_e32 v30, 0xc00, v19
	;; [unrolled: 1-line block ×3, first 2 shown]
	s_waitcnt lgkmcnt(0)
	s_barrier
	s_barrier
	ds_read2_b64 v[34:37], v0 offset0:70 offset1:136
	ds_read2_b64 v[38:41], v30 offset0:78 offset1:144
	ds_read_b64 v[6:7], v28
	ds_read2_b64 v[46:49], v19 offset0:66 offset1:132
	ds_read2_b64 v[50:53], v31 offset0:82 offset1:148
	v_add_u32_e32 v33, 0x800, v19
	ds_read2_b64 v[42:45], v33 offset0:74 offset1:140
	s_waitcnt lgkmcnt(4)
	v_pk_add_f32 v[26:27], v[40:41], v[34:35]
	v_pk_add_f32 v[8:9], v[34:35], v[40:41] neg_lo:[0,1] neg_hi:[0,1]
	s_waitcnt lgkmcnt(1)
	v_pk_add_f32 v[54:55], v[52:53], v[46:47]
	v_pk_add_f32 v[24:25], v[46:47], v[52:53] neg_lo:[0,1] neg_hi:[0,1]
	v_pk_add_f32 v[46:47], v[6:7], v[46:47]
	s_mov_b32 s12, 0x3ed4b147
	v_pk_add_f32 v[46:47], v[46:47], v[48:49]
	s_mov_b32 s13, 0xbf68dda4
	;; [unrolled: 2-line block ×4, first 2 shown]
	s_waitcnt lgkmcnt(0)
	v_pk_add_f32 v[34:35], v[34:35], v[42:43]
	s_mov_b32 s6, 0x3f575c64
	v_pk_add_f32 v[34:35], v[34:35], v[44:45]
	v_pk_mul_f32 v[10:11], v[24:25], s[8:9] op_sel_hi:[1,0]
	v_pk_add_f32 v[34:35], v[34:35], v[38:39]
	s_mov_b32 s15, 0xbf7d64f0
	v_pk_add_f32 v[34:35], v[34:35], v[40:41]
	v_pk_add_f32 v[40:41], v[50:51], v[48:49]
	v_pk_add_f32 v[48:49], v[48:49], v[50:51] neg_lo:[0,1] neg_hi:[0,1]
	s_mov_b32 s22, s13
	s_mov_b32 s10, 0xbf4178ce
	v_pk_fma_f32 v[56:57], v[54:55], s[6:7], v[10:11] op_sel:[0,0,1] op_sel_hi:[1,0,0] neg_lo:[0,0,1] neg_hi:[0,0,1]
	v_pk_fma_f32 v[20:21], v[54:55], s[6:7], v[10:11] op_sel:[0,0,1] op_sel_hi:[1,0,0]
	s_mov_b32 s18, s15
	v_pk_add_f32 v[34:35], v[34:35], v[50:51]
	v_pk_mul_f32 v[50:51], v[48:49], s[22:23] op_sel_hi:[1,0]
	s_mov_b32 s2, 0xbf27a4f4
	v_pk_mul_f32 v[0:1], v[8:9], s[10:11] op_sel_hi:[1,0]
	v_pk_add_f32 v[22:23], v[36:37], v[38:39] neg_lo:[0,1] neg_hi:[0,1]
	v_mov_b32_e32 v11, v57
	v_pk_mul_f32 v[58:59], v[8:9], s[18:19] op_sel_hi:[1,0]
	v_pk_add_f32 v[34:35], v[34:35], v[52:53]
	v_pk_fma_f32 v[52:53], v[40:41], s[12:13], v[50:51] op_sel:[0,0,1] op_sel_hi:[1,0,0] neg_lo:[0,0,1] neg_hi:[0,0,1]
	v_pk_fma_f32 v[50:51], v[40:41], s[12:13], v[50:51] op_sel:[0,0,1] op_sel_hi:[1,0,0]
	v_mov_b32_e32 v57, v21
	v_pk_fma_f32 v[2:3], v[26:27], s[2:3], v[0:1] op_sel:[0,0,1] op_sel_hi:[1,0,0]
	v_pk_fma_f32 v[0:1], v[26:27], s[2:3], v[0:1] op_sel:[0,0,1] op_sel_hi:[1,0,0] neg_lo:[0,0,1] neg_hi:[0,0,1]
	v_pk_add_f32 v[4:5], v[38:39], v[36:37]
	v_pk_add_f32 v[12:13], v[44:45], v[42:43]
	v_pk_add_f32 v[14:15], v[42:43], v[44:45] neg_lo:[0,1] neg_hi:[0,1]
	s_mov_b32 s3, s10
	s_mov_b32 s20, 0xbe903f40
	v_pk_fma_f32 v[36:37], v[26:27], s[14:15], v[58:59] op_sel:[0,0,1] op_sel_hi:[1,0,0] neg_lo:[0,0,1] neg_hi:[0,0,1]
	v_pk_fma_f32 v[46:47], v[26:27], s[14:15], v[58:59] op_sel:[0,0,1] op_sel_hi:[1,0,0]
	v_pk_mul_f32 v[42:43], v[22:23], s[10:11] op_sel_hi:[1,0]
	v_mov_b32_e32 v61, v53
	v_pk_add_f32 v[56:57], v[6:7], v[56:57]
	v_mov_b32_e32 v53, v51
	s_mov_b32 s16, 0xbf75a155
	v_mov_b32_e32 v59, v37
	v_pk_fma_f32 v[44:45], v[4:5], s[2:3], v[42:43] op_sel:[0,0,1] op_sel_hi:[1,0,0] neg_lo:[0,0,1] neg_hi:[0,0,1]
	v_pk_fma_f32 v[42:43], v[4:5], s[2:3], v[42:43] op_sel:[0,0,1] op_sel_hi:[1,0,0]
	v_pk_add_f32 v[52:53], v[52:53], v[56:57]
	v_pk_mul_f32 v[56:57], v[14:15], s[20:21] op_sel_hi:[1,0]
	v_mov_b32_e32 v37, v47
	v_mov_b32_e32 v39, v45
	v_pk_add_f32 v[36:37], v[36:37], v[52:53]
	v_pk_fma_f32 v[52:53], v[12:13], s[16:17], v[56:57] op_sel:[0,0,1] op_sel_hi:[1,0,0] neg_lo:[0,0,1] neg_hi:[0,0,1]
	v_pk_fma_f32 v[56:57], v[12:13], s[16:17], v[56:57] op_sel:[0,0,1] op_sel_hi:[1,0,0]
	v_mov_b32_e32 v45, v43
	v_pk_add_f32 v[36:37], v[44:45], v[36:37]
	v_mov_b32_e32 v21, v53
	s_movk_i32 s7, 0x50
	v_mov_b32_e32 v53, v57
	v_pk_add_f32 v[36:37], v[52:53], v[36:37]
	v_mad_u32_u24 v108, v18, s7, v19
	v_pk_mul_f32 v[44:45], v[24:25], s[20:21] op_sel_hi:[1,0]
	s_barrier
	ds_write2_b64 v108, v[34:35], v[36:37] offset1:1
	v_mov_b32_e32 v34, v54
	v_pk_fma_f32 v[52:53], v[54:55], s[16:17], v[44:45] op_sel:[0,0,1] op_sel_hi:[1,0,0]
	v_pk_fma_f32 v[44:45], v[54:55], s[16:17], v[44:45] op_sel:[0,0,1] op_sel_hi:[1,0,0] neg_lo:[0,0,1] neg_hi:[0,0,1]
	v_mov_b32_e32 v54, v55
	v_mov_b32_e32 v55, v24
	v_pk_mul_f32 v[36:37], v[24:25], s[12:13]
	v_pk_mul_f32 v[62:63], v[54:55], s[12:13]
	v_mov_b32_e32 v35, v25
	v_mov_b32_e32 v36, v37
	;; [unrolled: 1-line block ×5, first 2 shown]
	s_mov_b32 s26, 0x3e903f40
	s_mov_b32 s27, s10
	v_mov_b32_e32 v9, v48
	v_pk_fma_f32 v[62:63], v[34:35], s[12:13], v[36:37] neg_lo:[0,0,1] neg_hi:[0,0,1]
	v_pk_fma_f32 v[64:65], v[54:55], s[12:13], v[36:37]
	s_mov_b32 s24, 0x3f68dda4
	v_mov_b32_e32 v76, v26
	v_mov_b32_e32 v77, v40
	s_mov_b32 s17, s2
	v_mov_b32_e32 v26, v27
	v_mov_b32_e32 v27, v41
	v_pk_mul_f32 v[80:81], v[78:79], s[26:27]
	v_pk_mul_f32 v[84:85], v[8:9], s[26:27]
	v_mov_b32_e32 v63, v65
	v_pk_mul_f32 v[64:65], v[22:23], s[24:25] op_sel_hi:[1,0]
	v_pk_fma_f32 v[82:83], v[76:77], s[16:17], v[80:81] neg_lo:[0,0,1] neg_hi:[0,0,1]
	v_pk_fma_f32 v[86:87], v[26:27], s[16:17], v[84:85]
	v_pk_fma_f32 v[66:67], v[4:5], s[12:13], v[64:65] op_sel:[0,0,1] op_sel_hi:[1,0,0]
	v_pk_fma_f32 v[64:65], v[4:5], s[12:13], v[64:65] op_sel:[0,0,1] op_sel_hi:[1,0,0] neg_lo:[0,0,1] neg_hi:[0,0,1]
	s_mov_b32 s7, s14
	s_mov_b32 s22, 0x3f0a6770
	v_mov_b32_e32 v69, v4
	v_mov_b32_e32 v4, v13
	v_pk_add_f32 v[62:63], v[6:7], v[62:63]
	v_mov_b32_e32 v88, v83
	v_mov_b32_e32 v89, v87
	s_mov_b32 s23, 0x3f7d64f0
	v_mov_b32_e32 v70, v14
	v_mov_b32_e32 v71, v22
	v_pk_mul_f32 v[72:73], v[4:5], s[6:7]
	v_pk_add_f32 v[62:63], v[88:89], v[62:63]
	v_mov_b32_e32 v83, v86
	v_mov_b32_e32 v22, v15
	;; [unrolled: 1-line block ×3, first 2 shown]
	v_pk_mul_f32 v[72:73], v[70:71], s[22:23]
	v_pk_add_f32 v[62:63], v[82:83], v[62:63]
	v_mov_b32_e32 v68, v12
	v_pk_mul_f32 v[82:83], v[22:23], s[22:23]
	v_mov_b32_e32 v47, v72
	v_pk_fma_f32 v[86:87], v[68:69], s[6:7], v[82:83] neg_lo:[0,0,1] neg_hi:[0,0,1]
	v_pk_fma_f32 v[88:89], v[4:5], s[6:7], v[72:73]
	v_pk_add_f32 v[74:75], v[46:47], v[42:43]
	v_mov_b32_e32 v88, v87
	v_mov_b32_e32 v74, v86
	v_pk_add_f32 v[62:63], v[88:89], v[62:63]
	s_mov_b32 s11, s8
	v_pk_add_f32 v[62:63], v[74:75], v[62:63]
	v_pk_mul_f32 v[74:75], v[24:25], s[14:15]
	v_pk_mul_f32 v[24:25], v[24:25], s[2:3]
	v_mov_b32_e32 v38, v75
	v_pk_mul_f32 v[74:75], v[54:55], s[14:15]
	v_mov_b32_e32 v10, v25
	v_mov_b32_e32 v43, v74
	v_pk_mul_f32 v[24:25], v[54:55], s[2:3]
	v_pk_fma_f32 v[74:75], v[34:35], s[14:15], v[38:39] neg_lo:[0,0,1] neg_hi:[0,0,1]
	v_pk_fma_f32 v[86:87], v[54:55], s[14:15], v[42:43]
	v_mov_b32_e32 v25, v24
	v_mov_b32_e32 v75, v87
	v_pk_fma_f32 v[86:87], v[34:35], s[2:3], v[10:11] neg_lo:[0,0,1] neg_hi:[0,0,1]
	v_pk_fma_f32 v[88:89], v[34:35], s[2:3], v[10:11]
	v_pk_fma_f32 v[90:91], v[54:55], s[2:3], v[24:25]
	v_pk_fma_f32 v[24:25], v[54:55], s[2:3], v[24:25] neg_lo:[1,0,0] neg_hi:[1,0,0]
	s_mov_b32 s3, s6
	v_pk_mul_f32 v[92:93], v[4:5], s[2:3]
	s_mov_b32 s25, s20
	v_mov_b32_e32 v47, v92
	v_pk_mul_f32 v[92:93], v[70:71], s[10:11]
	v_pk_mul_f32 v[70:71], v[70:71], s[24:25]
	;; [unrolled: 1-line block ×3, first 2 shown]
	s_mov_b32 s25, s26
	s_mov_b32 s28, s12
	;; [unrolled: 1-line block ×3, first 2 shown]
	v_pk_mul_f32 v[98:99], v[78:79], s[24:25]
	v_pk_mul_f32 v[102:103], v[8:9], s[24:25]
	v_pk_fma_f32 v[100:101], v[76:77], s[28:29], v[98:99] neg_lo:[0,0,1] neg_hi:[0,0,1]
	v_pk_fma_f32 v[104:105], v[26:27], s[28:29], v[102:103]
	v_pk_add_f32 v[74:75], v[6:7], v[74:75]
	v_mov_b32_e32 v106, v101
	v_mov_b32_e32 v107, v105
	v_pk_add_f32 v[74:75], v[106:107], v[74:75]
	v_mov_b32_e32 v101, v104
	v_pk_mul_f32 v[22:23], v[22:23], s[10:11]
	v_mov_b32_e32 v51, v92
	v_pk_add_f32 v[74:75], v[100:101], v[74:75]
	v_pk_fma_f32 v[100:101], v[68:69], s[2:3], v[22:23] neg_lo:[0,0,1] neg_hi:[0,0,1]
	v_pk_fma_f32 v[104:105], v[4:5], s[2:3], v[92:93]
	v_pk_add_f32 v[94:95], v[50:51], v[46:47]
	v_mov_b32_e32 v104, v101
	v_mov_b32_e32 v94, v100
	v_pk_add_f32 v[74:75], v[104:105], v[74:75]
	v_pk_mul_f32 v[14:15], v[14:15], s[18:19] op_sel_hi:[1,0]
	v_pk_add_f32 v[74:75], v[94:95], v[74:75]
	s_mov_b32 s9, s23
	ds_write2_b64 v108, v[62:63], v[74:75] offset0:2 offset1:3
	v_mov_b32_e32 v10, v20
	v_pk_fma_f32 v[62:63], v[34:35], s[12:13], v[36:37]
	v_pk_fma_f32 v[34:35], v[34:35], s[14:15], v[38:39]
	v_pk_fma_f32 v[36:37], v[54:55], s[12:13], v[36:37] neg_lo:[1,0,0] neg_hi:[1,0,0]
	v_pk_fma_f32 v[54:55], v[54:55], s[14:15], v[42:43] neg_lo:[1,0,0] neg_hi:[1,0,0]
	v_mov_b32_e32 v58, v46
	v_mov_b32_e32 v38, v42
	;; [unrolled: 1-line block ×3, first 2 shown]
	v_pk_fma_f32 v[42:43], v[68:69], s[6:7], v[82:83]
	v_pk_fma_f32 v[22:23], v[68:69], s[2:3], v[22:23]
	v_pk_fma_f32 v[46:47], v[68:69], s[28:29], v[96:97] neg_lo:[0,0,1] neg_hi:[0,0,1]
	v_pk_fma_f32 v[56:57], v[68:69], s[28:29], v[96:97]
	v_pk_fma_f32 v[68:69], v[12:13], s[14:15], v[14:15] op_sel:[0,0,1] op_sel_hi:[1,0,0]
	v_pk_fma_f32 v[12:13], v[12:13], s[14:15], v[14:15] op_sel:[0,0,1] op_sel_hi:[1,0,0] neg_lo:[0,0,1] neg_hi:[0,0,1]
	v_pk_mul_f32 v[14:15], v[48:49], s[22:23] op_sel_hi:[1,0]
	v_pk_mul_f32 v[78:79], v[78:79], s[8:9]
	v_pk_mul_f32 v[8:9], v[8:9], s[8:9]
	v_pk_fma_f32 v[48:49], v[40:41], s[6:7], v[14:15] op_sel:[0,0,1] op_sel_hi:[1,0,0]
	v_pk_fma_f32 v[14:15], v[40:41], s[6:7], v[14:15] op_sel:[0,0,1] op_sel_hi:[1,0,0] neg_lo:[0,0,1] neg_hi:[0,0,1]
	v_pk_fma_f32 v[40:41], v[76:77], s[16:17], v[80:81]
	v_pk_fma_f32 v[74:75], v[76:77], s[28:29], v[98:99]
	v_pk_fma_f32 v[80:81], v[76:77], s[6:7], v[78:79] neg_lo:[0,0,1] neg_hi:[0,0,1]
	v_pk_fma_f32 v[76:77], v[76:77], s[6:7], v[78:79]
	v_pk_fma_f32 v[78:79], v[26:27], s[16:17], v[84:85] neg_lo:[0,0,1] neg_hi:[0,0,1]
	v_pk_fma_f32 v[82:83], v[26:27], s[28:29], v[102:103] neg_lo:[0,0,1] neg_hi:[0,0,1]
	v_pk_fma_f32 v[84:85], v[26:27], s[6:7], v[8:9]
	v_pk_fma_f32 v[8:9], v[26:27], s[6:7], v[8:9] neg_lo:[0,0,1] neg_hi:[0,0,1]
	v_mov_b32_e32 v60, v50
	v_pk_add_f32 v[10:11], v[6:7], v[10:11]
	v_mov_b32_e32 v26, v52
	v_mov_b32_e32 v27, v45
	v_pk_add_f32 v[10:11], v[60:61], v[10:11]
	v_pk_add_f32 v[26:27], v[6:7], v[26:27]
	v_mov_b32_e32 v50, v48
	v_mov_b32_e32 v51, v15
	v_pk_add_f32 v[26:27], v[50:51], v[26:27]
	;; [unrolled: 4-line block ×3, first 2 shown]
	v_pk_add_f32 v[10:11], v[38:39], v[10:11]
	v_mov_b32_e32 v38, v66
	v_mov_b32_e32 v39, v65
	;; [unrolled: 1-line block ×3, first 2 shown]
	v_pk_mul_f32 v[58:59], v[4:5], s[28:29]
	v_pk_add_f32 v[26:27], v[38:39], v[26:27]
	v_pk_fma_f32 v[38:39], v[4:5], s[6:7], v[72:73] neg_lo:[0,0,1] neg_hi:[0,0,1]
	v_pk_fma_f32 v[50:51], v[4:5], s[2:3], v[92:93] neg_lo:[0,0,1] neg_hi:[0,0,1]
	v_pk_fma_f32 v[60:61], v[4:5], s[28:29], v[70:71]
	v_pk_fma_f32 v[72:73], v[4:5], s[28:29], v[70:71] neg_lo:[0,0,1] neg_hi:[0,0,1]
	v_mov_b32_e32 v1, v70
	v_mov_b32_e32 v5, v58
	v_pk_add_f32 v[58:59], v[6:7], v[86:87]
	v_mov_b32_e32 v70, v81
	v_mov_b32_e32 v71, v85
	v_pk_add_f32 v[58:59], v[70:71], v[58:59]
	v_mov_b32_e32 v81, v84
	v_pk_add_f32 v[4:5], v[0:1], v[4:5]
	v_pk_add_f32 v[58:59], v[80:81], v[58:59]
	v_mov_b32_e32 v60, v47
	v_mov_b32_e32 v4, v46
	v_pk_add_f32 v[46:47], v[60:61], v[58:59]
	v_mov_b32_e32 v45, v53
	v_pk_add_f32 v[46:47], v[4:5], v[46:47]
	;; [unrolled: 2-line block ×5, first 2 shown]
	v_mov_b32_e32 v2, v68
	v_mov_b32_e32 v3, v13
	;; [unrolled: 1-line block ×3, first 2 shown]
	v_pk_add_f32 v[0:1], v[64:65], v[0:1]
	v_mov_b32_e32 v89, v25
	v_pk_add_f32 v[12:13], v[12:13], v[0:1]
	v_pk_add_f32 v[4:5], v[20:21], v[10:11]
	;; [unrolled: 1-line block ×4, first 2 shown]
	v_mov_b32_e32 v10, v77
	v_mov_b32_e32 v11, v9
	v_pk_add_f32 v[2:3], v[10:11], v[2:3]
	v_mov_b32_e32 v77, v8
	v_pk_add_f32 v[2:3], v[76:77], v[2:3]
	v_mov_b32_e32 v8, v57
	v_mov_b32_e32 v9, v73
	;; [unrolled: 1-line block ×3, first 2 shown]
	v_pk_add_f32 v[2:3], v[8:9], v[2:3]
	v_pk_add_f32 v[8:9], v[6:7], v[34:35]
	v_mov_b32_e32 v10, v75
	v_mov_b32_e32 v11, v83
	v_pk_add_f32 v[8:9], v[10:11], v[8:9]
	v_mov_b32_e32 v75, v82
	v_pk_add_f32 v[8:9], v[74:75], v[8:9]
	v_mov_b32_e32 v10, v23
	v_mov_b32_e32 v11, v51
	v_pk_add_f32 v[8:9], v[10:11], v[8:9]
	v_mov_b32_e32 v23, v50
	v_mov_b32_e32 v63, v37
	v_pk_add_f32 v[20:21], v[22:23], v[8:9]
	v_pk_add_f32 v[6:7], v[6:7], v[62:63]
	v_mov_b32_e32 v8, v41
	v_mov_b32_e32 v9, v79
	v_pk_add_f32 v[6:7], v[8:9], v[6:7]
	v_mov_b32_e32 v41, v78
	v_pk_add_f32 v[6:7], v[40:41], v[6:7]
	v_mov_b32_e32 v8, v43
	v_mov_b32_e32 v9, v39
	;; [unrolled: 1-line block ×3, first 2 shown]
	v_pk_add_f32 v[6:7], v[8:9], v[6:7]
	v_mov_b32_e32 v43, v38
	v_pk_add_f32 v[2:3], v[56:57], v[2:3]
	v_pk_add_f32 v[22:23], v[42:43], v[6:7]
	ds_write2_b64 v108, v[46:47], v[12:13] offset0:4 offset1:5
	ds_write2_b64 v108, v[0:1], v[2:3] offset0:6 offset1:7
	;; [unrolled: 1-line block ×3, first 2 shown]
	ds_write_b64 v108, v[4:5] offset:80
	s_waitcnt lgkmcnt(0)
	s_barrier
	ds_read2_b64 v[12:15], v19 offset0:121 offset1:242
	ds_read2_b64 v[8:11], v33 offset0:107 offset1:228
	ds_read_b64 v[24:25], v28
	ds_read_b64 v[26:27], v19 offset:4840
	v_cmp_gt_u32_e32 vcc, 55, v18
	s_and_saveexec_b64 s[2:3], vcc
	s_cbranch_execz .LBB0_21
; %bb.20:
	ds_read2_b64 v[0:3], v19 offset0:66 offset1:187
	ds_read_b64 v[20:21], v19 offset:2464
	ds_read2_b32 v[22:23], v30 offset0:90 offset1:91
	ds_read2_b64 v[4:7], v31 offset0:38 offset1:159
.LBB0_21:
	s_or_b64 exec, exec, s[2:3]
	s_movk_i32 s9, 0x75
	v_mul_lo_u16_sdwa v30, v18, s9 dst_sel:DWORD dst_unused:UNUSED_PAD src0_sel:BYTE_0 src1_sel:DWORD
	v_sub_u16_sdwa v31, v18, v30 dst_sel:DWORD dst_unused:UNUSED_PAD src0_sel:DWORD src1_sel:BYTE_1
	v_lshrrev_b16_e32 v31, 1, v31
	v_and_b32_e32 v31, 0x7f, v31
	v_add_u16_sdwa v30, v31, v30 dst_sel:DWORD dst_unused:UNUSED_PAD src0_sel:DWORD src1_sel:BYTE_1
	v_lshrrev_b16_e32 v33, 3, v30
	v_mul_lo_u16_e32 v30, 11, v33
	v_sub_u16_e32 v44, v18, v30
	v_mov_b32_e32 v31, 5
	v_mul_u32_u24_sdwa v30, v44, v31 dst_sel:DWORD dst_unused:UNUSED_PAD src0_sel:BYTE_0 src1_sel:DWORD
	v_lshlrev_b32_e32 v30, 3, v30
	global_load_dwordx4 v[34:37], v30, s[4:5]
	global_load_dwordx4 v[38:41], v30, s[4:5] offset:16
	global_load_dwordx2 v[42:43], v30, s[4:5] offset:32
	s_movk_i32 s8, 0x210
	v_mov_b32_e32 v30, 3
	v_mad_u32_u24 v33, v33, s8, 0
	v_lshlrev_b32_sdwa v44, v30, v44 dst_sel:DWORD dst_unused:UNUSED_PAD src0_sel:DWORD src1_sel:BYTE_0
	v_add3_u32 v33, v33, v44, v29
	s_mov_b32 s2, 0x3f5db3d7
	s_mov_b32 s3, 0xbf5db3d7
	s_waitcnt lgkmcnt(0)
	s_barrier
	s_waitcnt vmcnt(2)
	v_pk_mul_f32 v[44:45], v[34:35], v[12:13] op_sel:[0,1]
	v_pk_mul_f32 v[46:47], v[36:37], v[14:15] op_sel:[0,1]
	s_waitcnt vmcnt(1)
	v_pk_mul_f32 v[48:49], v[38:39], v[8:9] op_sel:[0,1]
	v_pk_mul_f32 v[50:51], v[40:41], v[10:11] op_sel:[0,1]
	s_waitcnt vmcnt(0)
	v_pk_mul_f32 v[52:53], v[42:43], v[26:27] op_sel:[0,1]
	v_pk_fma_f32 v[54:55], v[34:35], v[12:13], v[44:45] op_sel:[0,0,1] op_sel_hi:[1,1,0] neg_lo:[0,0,1] neg_hi:[0,0,1]
	v_pk_fma_f32 v[12:13], v[34:35], v[12:13], v[44:45] op_sel:[0,0,1] op_sel_hi:[1,0,0]
	v_pk_fma_f32 v[34:35], v[36:37], v[14:15], v[46:47] op_sel:[0,0,1] op_sel_hi:[1,1,0] neg_lo:[0,0,1] neg_hi:[0,0,1]
	v_pk_fma_f32 v[14:15], v[36:37], v[14:15], v[46:47] op_sel:[0,0,1] op_sel_hi:[1,0,0]
	;; [unrolled: 2-line block ×5, first 2 shown]
	v_mov_b32_e32 v35, v15
	v_mov_b32_e32 v37, v9
	v_mov_b32_e32 v39, v11
	v_mov_b32_e32 v41, v27
	v_mov_b32_e32 v55, v13
	v_pk_add_f32 v[12:13], v[34:35], v[38:39]
	v_pk_add_f32 v[14:15], v[34:35], v[38:39] neg_lo:[0,1] neg_hi:[0,1]
	v_pk_add_f32 v[26:27], v[36:37], v[40:41]
	v_pk_add_f32 v[8:9], v[24:25], v[34:35]
	;; [unrolled: 1-line block ×3, first 2 shown]
	v_pk_add_f32 v[34:35], v[36:37], v[40:41] neg_lo:[0,1] neg_hi:[0,1]
	v_pk_fma_f32 v[12:13], v[12:13], 0.5, v[24:25] op_sel_hi:[1,0,1] neg_lo:[1,0,0] neg_hi:[1,0,0]
	v_pk_mul_f32 v[14:15], v[14:15], s[2:3] op_sel_hi:[1,0]
	v_pk_fma_f32 v[24:25], v[26:27], 0.5, v[54:55] op_sel_hi:[1,0,1] neg_lo:[1,0,0] neg_hi:[1,0,0]
	v_pk_add_f32 v[8:9], v[8:9], v[38:39]
	v_pk_add_f32 v[10:11], v[10:11], v[40:41]
	v_pk_add_f32 v[36:37], v[14:15], v[12:13] op_sel:[1,0] op_sel_hi:[0,1]
	v_pk_add_f32 v[12:13], v[12:13], v[14:15] op_sel:[0,1] op_sel_hi:[1,0] neg_lo:[0,1] neg_hi:[0,1]
	v_pk_fma_f32 v[14:15], v[34:35], s[2:3], v[24:25] op_sel:[0,0,1] op_sel_hi:[1,0,0]
	v_pk_fma_f32 v[24:25], v[34:35], s[2:3], v[24:25] op_sel:[0,0,1] op_sel_hi:[1,0,0] neg_lo:[1,0,0] neg_hi:[1,0,0]
	v_pk_add_f32 v[26:27], v[8:9], v[10:11]
	v_pk_add_f32 v[8:9], v[8:9], v[10:11] neg_lo:[0,1] neg_hi:[0,1]
	v_mov_b32_e32 v10, v12
	v_mov_b32_e32 v34, v14
	v_mov_b32_e32 v35, v25
	v_mul_f32_e32 v12, 0x3f5db3d7, v24
	v_mov_b32_e32 v11, v37
	v_mul_f32_e32 v37, 0xbf5db3d7, v15
	v_fmac_f32_e32 v12, 0.5, v15
	v_pk_mul_f32 v[14:15], v[34:35], 0.5 op_sel_hi:[1,0]
	v_fmac_f32_e32 v37, 0.5, v24
	v_pk_fma_f32 v[14:15], v[34:35], s[2:3], v[14:15] op_sel:[0,0,1] op_sel_hi:[1,1,0] neg_lo:[0,0,1] neg_hi:[0,0,1]
	v_add_f32_e32 v24, v36, v12
	v_add_f32_e32 v25, v13, v37
	v_pk_add_f32 v[34:35], v[10:11], v[14:15]
	v_sub_f32_e32 v12, v36, v12
	v_sub_f32_e32 v13, v13, v37
	ds_write2_b64 v33, v[26:27], v[24:25] offset1:11
	v_pk_add_f32 v[10:11], v[10:11], v[14:15] neg_lo:[0,1] neg_hi:[0,1]
	ds_write2_b64 v33, v[34:35], v[8:9] offset0:22 offset1:33
	ds_write2_b64 v33, v[12:13], v[10:11] offset0:44 offset1:55
	s_and_saveexec_b64 s[6:7], vcc
	s_cbranch_execz .LBB0_23
; %bb.22:
	v_add_u16_e32 v8, 0x42, v18
	v_mul_lo_u16_sdwa v9, v8, s9 dst_sel:DWORD dst_unused:UNUSED_PAD src0_sel:BYTE_0 src1_sel:DWORD
	v_sub_u16_sdwa v10, v8, v9 dst_sel:DWORD dst_unused:UNUSED_PAD src0_sel:DWORD src1_sel:BYTE_1
	v_lshrrev_b16_e32 v10, 1, v10
	v_and_b32_e32 v10, 0x7f, v10
	v_add_u16_sdwa v9, v10, v9 dst_sel:DWORD dst_unused:UNUSED_PAD src0_sel:DWORD src1_sel:BYTE_1
	v_lshrrev_b16_e32 v27, 3, v9
	v_mul_lo_u16_e32 v9, 11, v27
	v_sub_u16_e32 v33, v8, v9
	v_mul_u32_u24_sdwa v8, v33, v31 dst_sel:DWORD dst_unused:UNUSED_PAD src0_sel:BYTE_0 src1_sel:DWORD
	v_lshlrev_b32_e32 v26, 3, v8
	global_load_dwordx4 v[8:11], v26, s[4:5]
	global_load_dwordx4 v[12:15], v26, s[4:5] offset:16
	global_load_dwordx2 v[24:25], v26, s[4:5] offset:32
	v_mov_b32_e32 v26, v21
	v_mov_b32_e32 v36, v23
	;; [unrolled: 1-line block ×4, first 2 shown]
	v_mad_u32_u24 v3, v27, s8, 0
	v_lshlrev_b32_sdwa v7, v30, v33 dst_sel:DWORD dst_unused:UNUSED_PAD src0_sel:DWORD src1_sel:BYTE_0
	v_add3_u32 v29, v3, v7, v29
	s_waitcnt vmcnt(2)
	v_pk_mul_f32 v[26:27], v[26:27], v[10:11] op_sel_hi:[0,1]
	s_waitcnt vmcnt(1)
	v_pk_mul_f32 v[30:31], v[4:5], v[14:15] op_sel:[1,0]
	v_pk_mul_f32 v[36:37], v[36:37], v[12:13] op_sel_hi:[0,1]
	s_waitcnt vmcnt(0)
	v_pk_mul_f32 v[38:39], v[38:39], v[24:25] op_sel_hi:[0,1]
	v_pk_mul_f32 v[34:35], v[34:35], v[8:9] op_sel_hi:[0,1]
	v_pk_fma_f32 v[40:41], v[20:21], v[10:11], v[26:27] op_sel:[0,0,1] op_sel_hi:[1,1,0] neg_lo:[0,0,1] neg_hi:[0,0,1]
	v_pk_fma_f32 v[10:11], v[20:21], v[10:11], v[26:27] op_sel:[0,0,1] op_sel_hi:[0,1,0]
	v_pk_fma_f32 v[20:21], v[4:5], v[14:15], v[30:31] op_sel:[0,0,1] op_sel_hi:[1,1,0] neg_lo:[0,0,1] neg_hi:[0,0,1]
	v_pk_fma_f32 v[4:5], v[4:5], v[14:15], v[30:31] op_sel:[0,0,1] op_sel_hi:[0,1,0]
	;; [unrolled: 2-line block ×5, first 2 shown]
	v_mov_b32_e32 v15, v13
	v_mov_b32_e32 v23, v7
	;; [unrolled: 1-line block ×5, first 2 shown]
	v_pk_add_f32 v[8:9], v[14:15], v[22:23]
	v_pk_add_f32 v[2:3], v[0:1], v[40:41]
	;; [unrolled: 1-line block ×3, first 2 shown]
	v_pk_add_f32 v[6:7], v[14:15], v[22:23] neg_lo:[0,1] neg_hi:[0,1]
	v_pk_add_f32 v[10:11], v[40:41], v[20:21]
	v_pk_add_f32 v[12:13], v[40:41], v[20:21] neg_lo:[0,1] neg_hi:[0,1]
	v_pk_fma_f32 v[8:9], v[8:9], 0.5, v[24:25] op_sel_hi:[1,0,1] neg_lo:[1,0,0] neg_hi:[1,0,0]
	v_pk_add_f32 v[2:3], v[2:3], v[20:21]
	v_pk_add_f32 v[4:5], v[4:5], v[22:23]
	v_pk_fma_f32 v[0:1], v[10:11], 0.5, v[0:1] op_sel_hi:[1,0,1] neg_lo:[1,0,0] neg_hi:[1,0,0]
	v_pk_mul_f32 v[10:11], v[12:13], s[2:3] op_sel_hi:[1,0]
	v_pk_fma_f32 v[14:15], v[6:7], s[2:3], v[8:9] op_sel:[0,0,1] op_sel_hi:[1,0,0]
	v_pk_fma_f32 v[6:7], v[6:7], s[2:3], v[8:9] op_sel:[0,0,1] op_sel_hi:[1,0,0] neg_lo:[1,0,0] neg_hi:[1,0,0]
	v_pk_add_f32 v[12:13], v[2:3], v[4:5]
	v_pk_add_f32 v[8:9], v[0:1], v[10:11] op_sel:[0,1] op_sel_hi:[1,0] neg_lo:[0,1] neg_hi:[0,1]
	v_pk_add_f32 v[0:1], v[0:1], v[10:11] op_sel:[0,1] op_sel_hi:[1,0]
	v_pk_add_f32 v[2:3], v[2:3], v[4:5] neg_lo:[0,1] neg_hi:[0,1]
	v_mov_b32_e32 v4, v14
	v_mov_b32_e32 v5, v7
	;; [unrolled: 1-line block ×4, first 2 shown]
	v_mul_f32_e32 v1, 0xbf5db3d7, v15
	v_mul_f32_e32 v8, 0x3f5db3d7, v6
	v_pk_mul_f32 v[20:21], v[4:5], 0.5 op_sel_hi:[1,0]
	v_fmac_f32_e32 v1, 0.5, v6
	v_fmac_f32_e32 v8, 0.5, v15
	v_pk_fma_f32 v[4:5], v[4:5], s[2:3], v[20:21] op_sel:[0,0,1] op_sel_hi:[1,1,0] neg_lo:[0,0,1] neg_hi:[0,0,1]
	v_sub_f32_e32 v7, v9, v1
	v_sub_f32_e32 v6, v0, v8
	v_add_f32_e32 v1, v9, v1
	v_add_f32_e32 v0, v0, v8
	v_pk_add_f32 v[8:9], v[10:11], v[4:5]
	ds_write2_b64 v29, v[12:13], v[0:1] offset1:11
	v_pk_add_f32 v[0:1], v[10:11], v[4:5] neg_lo:[0,1] neg_hi:[0,1]
	ds_write2_b64 v29, v[8:9], v[2:3] offset0:22 offset1:33
	ds_write2_b64 v29, v[6:7], v[0:1] offset0:44 offset1:55
.LBB0_23:
	s_or_b64 exec, exec, s[6:7]
	v_mul_u32_u24_e32 v0, 10, v18
	v_lshlrev_b32_e32 v0, 3, v0
	s_waitcnt lgkmcnt(0)
	s_barrier
	global_load_dwordx4 v[2:5], v0, s[4:5] offset:440
	global_load_dwordx4 v[6:9], v0, s[4:5] offset:456
	;; [unrolled: 1-line block ×5, first 2 shown]
	ds_read2_b64 v[34:37], v19 offset0:66 offset1:132
	v_add_u32_e32 v29, 0x400, v19
	v_add_u32_e32 v33, 0x800, v19
	;; [unrolled: 1-line block ×3, first 2 shown]
	ds_read_b64 v[0:1], v28
	ds_read_b64 v[14:15], v19 offset:5280
	ds_read2_b64 v[28:31], v29 offset0:70 offset1:136
	ds_read2_b32 v[46:47], v33 offset0:148 offset1:149
	ds_read2_b64 v[38:41], v33 offset0:140 offset1:206
	ds_read2_b64 v[42:45], v124 offset0:16 offset1:82
	s_mov_b32 s2, 0xbf0a6770
	s_mov_b32 s3, 0x3f575c64
	s_waitcnt lgkmcnt(2)
	v_mov_b32_e32 v48, v47
	s_mov_b32 s12, s3
	s_mov_b32 s13, s2
	;; [unrolled: 1-line block ×18, first 2 shown]
	s_waitcnt lgkmcnt(0)
	s_barrier
	s_mov_b32 s24, s11
	s_mov_b32 s16, 0x3f7d64f0
	;; [unrolled: 1-line block ×10, first 2 shown]
	s_waitcnt vmcnt(4)
	v_mul_f32_e32 v47, v3, v35
	v_mul_f32_e32 v49, v3, v34
	v_mov_b32_e32 v50, v5
	v_mov_b32_e32 v51, v4
	s_waitcnt vmcnt(3)
	v_pk_mul_f32 v[52:53], v[6:7], v[28:29] op_sel:[0,1]
	v_pk_mul_f32 v[54:55], v[8:9], v[30:31] op_sel:[0,1]
	s_waitcnt vmcnt(2)
	v_pk_mul_f32 v[56:57], v[48:49], v[10:11] op_sel_hi:[0,1]
	v_mov_b32_e32 v58, v13
	s_waitcnt vmcnt(1)
	v_pk_mul_f32 v[60:61], v[40:41], v[20:21] op_sel:[0,1]
	v_fma_f32 v48, v2, v34, -v47
	v_fmac_f32_e32 v49, v2, v35
	v_pk_mul_f32 v[2:3], v[50:51], v[36:37] op_sel:[0,1]
	v_pk_fma_f32 v[34:35], v[6:7], v[28:29], v[52:53] op_sel:[0,0,1] op_sel_hi:[1,1,0] neg_lo:[0,0,1] neg_hi:[0,0,1]
	v_pk_fma_f32 v[6:7], v[6:7], v[28:29], v[52:53] op_sel:[0,0,1] op_sel_hi:[1,0,0]
	v_pk_fma_f32 v[28:29], v[8:9], v[30:31], v[54:55] op_sel:[0,0,1] op_sel_hi:[1,1,0] neg_lo:[0,0,1] neg_hi:[0,0,1]
	v_pk_fma_f32 v[8:9], v[8:9], v[30:31], v[54:55] op_sel:[0,0,1] op_sel_hi:[1,0,0]
	;; [unrolled: 2-line block ×3, first 2 shown]
	v_pk_mul_f32 v[46:47], v[38:39], v[58:59] op_sel_hi:[1,0]
	v_pk_fma_f32 v[50:51], v[40:41], v[20:21], v[60:61] op_sel:[0,0,1] op_sel_hi:[1,1,0] neg_lo:[0,0,1] neg_hi:[0,0,1]
	v_pk_fma_f32 v[20:21], v[40:41], v[20:21], v[60:61] op_sel:[0,0,1] op_sel_hi:[1,0,0]
	v_pk_fma_f32 v[54:55], v[4:5], v[36:37], v[2:3] neg_lo:[0,0,1] neg_hi:[0,0,1]
	v_pk_fma_f32 v[2:3], v[4:5], v[36:37], v[2:3] op_sel_hi:[1,0,1]
	v_mov_b32_e32 v35, v7
	v_pk_fma_f32 v[4:5], v[38:39], v[12:13], v[46:47] op_sel:[0,0,1] op_sel_hi:[1,1,0] neg_lo:[0,0,1] neg_hi:[0,0,1]
	v_pk_fma_f32 v[6:7], v[38:39], v[12:13], v[46:47] op_sel:[0,0,1] op_sel_hi:[1,0,0]
	v_mov_b32_e32 v51, v21
	v_pk_add_f32 v[20:21], v[48:49], v[0:1]
	v_mov_b32_e32 v55, v3
	v_mov_b32_e32 v5, v7
	v_pk_add_f32 v[6:7], v[20:21], v[54:55]
	v_mov_b32_e32 v29, v9
	v_pk_add_f32 v[6:7], v[6:7], v[34:35]
	v_mov_b32_e32 v62, v23
	s_waitcnt vmcnt(0)
	v_pk_mul_f32 v[64:65], v[44:45], v[24:25] op_sel:[0,1]
	v_mov_b32_e32 v66, v27
	v_mov_b32_e32 v31, v11
	v_pk_add_f32 v[6:7], v[6:7], v[28:29]
	v_pk_mul_f32 v[40:41], v[42:43], v[62:63] op_sel_hi:[1,0]
	v_pk_fma_f32 v[52:53], v[44:45], v[24:25], v[64:65] op_sel:[0,0,1] op_sel_hi:[1,1,0] neg_lo:[0,0,1] neg_hi:[0,0,1]
	v_pk_fma_f32 v[24:25], v[44:45], v[24:25], v[64:65] op_sel:[0,0,1] op_sel_hi:[1,0,0]
	v_pk_mul_f32 v[44:45], v[14:15], v[66:67] op_sel_hi:[1,0]
	v_pk_add_f32 v[6:7], v[6:7], v[30:31]
	v_pk_fma_f32 v[8:9], v[42:43], v[22:23], v[40:41] op_sel:[0,0,1] op_sel_hi:[1,1,0] neg_lo:[0,0,1] neg_hi:[0,0,1]
	v_pk_fma_f32 v[10:11], v[42:43], v[22:23], v[40:41] op_sel:[0,0,1] op_sel_hi:[1,0,0]
	v_pk_fma_f32 v[12:13], v[14:15], v[26:27], v[44:45] op_sel:[0,0,1] op_sel_hi:[1,0,0] neg_lo:[0,0,1] neg_hi:[0,0,1]
	v_pk_fma_f32 v[14:15], v[14:15], v[26:27], v[44:45] op_sel:[0,0,1] op_sel_hi:[1,0,0]
	v_pk_add_f32 v[44:45], v[30:31], v[4:5]
	v_pk_add_f32 v[46:47], v[30:31], v[4:5] neg_lo:[0,1] neg_hi:[0,1]
	v_pk_add_f32 v[4:5], v[6:7], v[4:5]
	v_mov_b32_e32 v9, v11
	v_pk_add_f32 v[4:5], v[4:5], v[50:51]
	v_mov_b32_e32 v53, v25
	v_add_f32_e32 v36, v48, v12
	v_sub_f32_e32 v37, v48, v12
	v_pk_add_f32 v[4:5], v[4:5], v[8:9]
	v_mov_b32_e32 v13, v15
	v_add_f32_e32 v3, v49, v15
	v_sub_f32_e32 v2, v49, v15
	v_pk_add_f32 v[4:5], v[4:5], v[52:53]
	v_pk_mul_f32 v[6:7], v[36:37], s[12:13]
	v_pk_add_f32 v[42:43], v[34:35], v[8:9]
	v_pk_add_f32 v[20:21], v[34:35], v[8:9] neg_lo:[0,1] neg_hi:[0,1]
	v_pk_add_f32 v[34:35], v[4:5], v[12:13]
	v_pk_fma_f32 v[8:9], v[2:3], s[2:3], v[6:7] neg_lo:[1,0,0] neg_hi:[1,0,0]
	v_pk_fma_f32 v[4:5], v[2:3], s[2:3], v[6:7]
	v_pk_add_f32 v[40:41], v[54:55], v[52:53]
	v_pk_add_f32 v[10:11], v[54:55], v[52:53] neg_lo:[0,1] neg_hi:[0,1]
	v_mov_b32_e32 v9, v5
	v_pk_add_f32 v[14:15], v[8:9], v[0:1]
	v_mov_b32_e32 v9, v41
	v_mov_b32_e32 v41, v10
	;; [unrolled: 1-line block ×3, first 2 shown]
	v_pk_mul_f32 v[12:13], v[40:41], s[14:15]
	v_pk_add_f32 v[38:39], v[28:29], v[50:51]
	v_pk_fma_f32 v[22:23], v[8:9], s[4:5], v[12:13] neg_lo:[1,0,0] neg_hi:[1,0,0]
	v_pk_fma_f32 v[10:11], v[8:9], s[4:5], v[12:13]
	v_pk_add_f32 v[26:27], v[28:29], v[50:51] neg_lo:[0,1] neg_hi:[0,1]
	v_mov_b32_e32 v23, v11
	v_pk_add_f32 v[24:25], v[22:23], v[14:15]
	v_mov_b32_e32 v15, v43
	v_mov_b32_e32 v43, v20
	;; [unrolled: 1-line block ×3, first 2 shown]
	v_pk_mul_f32 v[22:23], v[42:43], s[20:21]
	v_pk_mul_f32 v[54:55], v[40:41], s[22:23]
	v_pk_fma_f32 v[28:29], v[14:15], s[6:7], v[22:23] neg_lo:[1,0,0] neg_hi:[1,0,0]
	v_pk_fma_f32 v[20:21], v[14:15], s[6:7], v[22:23]
	v_pk_fma_f32 v[56:57], v[8:9], s[8:9], v[54:55] neg_lo:[1,0,0] neg_hi:[1,0,0]
	v_mov_b32_e32 v29, v21
	v_pk_add_f32 v[30:31], v[28:29], v[24:25]
	v_mov_b32_e32 v25, v39
	v_mov_b32_e32 v39, v26
	;; [unrolled: 1-line block ×3, first 2 shown]
	v_pk_mul_f32 v[28:29], v[38:39], s[22:23]
	v_pk_fma_f32 v[58:59], v[8:9], s[8:9], v[54:55]
	v_pk_fma_f32 v[48:49], v[24:25], s[8:9], v[28:29] neg_lo:[1,0,0] neg_hi:[1,0,0]
	v_pk_fma_f32 v[26:27], v[24:25], s[8:9], v[28:29]
	v_mov_b32_e32 v57, v59
	v_mov_b32_e32 v49, v27
	v_pk_add_f32 v[48:49], v[48:49], v[30:31]
	v_mov_b32_e32 v31, v45
	v_mov_b32_e32 v45, v46
	;; [unrolled: 1-line block ×3, first 2 shown]
	v_pk_mul_f32 v[46:47], v[44:45], s[26:27]
	v_pk_mul_f32 v[94:95], v[40:41], s[28:29]
	v_pk_fma_f32 v[50:51], v[30:31], s[10:11], v[46:47] neg_lo:[1,0,0] neg_hi:[1,0,0]
	v_pk_fma_f32 v[52:53], v[30:31], s[10:11], v[46:47]
	v_pk_fma_f32 v[96:97], v[8:9], s[16:17], v[94:95] neg_lo:[1,0,0] neg_hi:[1,0,0]
	v_mov_b32_e32 v51, v53
	v_pk_add_f32 v[48:49], v[50:51], v[48:49]
	ds_write2_b64 v19, v[34:35], v[48:49] offset1:66
	v_pk_mul_f32 v[34:35], v[36:37], s[14:15]
	s_mov_b32 s14, 0x3e903f40
	v_pk_fma_f32 v[48:49], v[2:3], s[4:5], v[34:35] neg_lo:[1,0,0] neg_hi:[1,0,0]
	v_pk_fma_f32 v[50:51], v[2:3], s[4:5], v[34:35]
	s_mov_b32 s25, s14
	v_mov_b32_e32 v49, v51
	v_pk_add_f32 v[48:49], v[48:49], v[0:1]
	s_mov_b32 s15, s11
	v_pk_add_f32 v[48:49], v[56:57], v[48:49]
	v_pk_mul_f32 v[56:57], v[42:43], s[24:25]
	v_pk_mul_f32 v[76:77], v[40:41], s[24:25]
	v_pk_fma_f32 v[60:61], v[14:15], s[14:15], v[56:57] neg_lo:[1,0,0] neg_hi:[1,0,0]
	v_pk_fma_f32 v[62:63], v[14:15], s[14:15], v[56:57]
	v_pk_fma_f32 v[78:79], v[8:9], s[14:15], v[76:77] neg_lo:[1,0,0] neg_hi:[1,0,0]
	v_mov_b32_e32 v61, v63
	v_pk_add_f32 v[48:49], v[60:61], v[48:49]
	v_pk_mul_f32 v[60:61], v[38:39], s[28:29]
	v_pk_fma_f32 v[80:81], v[8:9], s[14:15], v[76:77]
	v_pk_fma_f32 v[64:65], v[24:25], s[16:17], v[60:61] neg_lo:[1,0,0] neg_hi:[1,0,0]
	v_pk_fma_f32 v[66:67], v[24:25], s[16:17], v[60:61]
	s_mov_b32 s24, 0x3f68dda4
	v_mov_b32_e32 v65, v67
	v_pk_add_f32 v[48:49], v[64:65], v[48:49]
	v_pk_mul_f32 v[64:65], v[44:45], s[30:31]
	v_mov_b32_e32 v79, v81
	v_pk_fma_f32 v[68:69], v[30:31], s[18:19], v[64:65] neg_lo:[1,0,0] neg_hi:[1,0,0]
	v_pk_fma_f32 v[70:71], v[30:31], s[18:19], v[64:65]
	s_mov_b32 s35, s24
	v_mov_b32_e32 v69, v71
	v_pk_add_f32 v[48:49], v[68:69], v[48:49]
	v_pk_mul_f32 v[68:69], v[36:37], s[20:21]
	s_mov_b32 s25, s5
	v_pk_fma_f32 v[72:73], v[2:3], s[6:7], v[68:69] neg_lo:[1,0,0] neg_hi:[1,0,0]
	v_pk_fma_f32 v[74:75], v[2:3], s[6:7], v[68:69]
	v_pk_fma_f32 v[98:99], v[8:9], s[16:17], v[94:95]
	v_mov_b32_e32 v73, v75
	v_pk_add_f32 v[72:73], v[72:73], v[0:1]
	v_mov_b32_e32 v97, v99
	v_pk_add_f32 v[72:73], v[78:79], v[72:73]
	v_pk_mul_f32 v[78:79], v[42:43], s[34:35]
	v_pk_mul_f32 v[40:41], v[40:41], s[30:31]
	v_pk_fma_f32 v[82:83], v[14:15], s[24:25], v[78:79] neg_lo:[1,0,0] neg_hi:[1,0,0]
	v_pk_fma_f32 v[84:85], v[14:15], s[24:25], v[78:79]
	v_pk_fma_f32 v[114:115], v[8:9], s[18:19], v[40:41] neg_lo:[1,0,0] neg_hi:[1,0,0]
	v_mov_b32_e32 v83, v85
	v_pk_add_f32 v[72:73], v[82:83], v[72:73]
	v_pk_mul_f32 v[82:83], v[38:39], s[12:13]
	v_pk_fma_f32 v[116:117], v[8:9], s[18:19], v[40:41]
	v_pk_fma_f32 v[86:87], v[24:25], s[2:3], v[82:83] neg_lo:[1,0,0] neg_hi:[1,0,0]
	v_pk_fma_f32 v[88:89], v[24:25], s[2:3], v[82:83]
	v_mov_b32_e32 v115, v117
	v_mov_b32_e32 v87, v89
	v_pk_add_f32 v[72:73], v[86:87], v[72:73]
	v_pk_mul_f32 v[86:87], v[44:45], s[22:23]
	v_pk_fma_f32 v[40:41], v[8:9], s[18:19], v[40:41] neg_lo:[0,0,1] neg_hi:[0,0,1]
	v_pk_fma_f32 v[90:91], v[30:31], s[8:9], v[86:87] neg_lo:[1,0,0] neg_hi:[1,0,0]
	v_pk_fma_f32 v[92:93], v[30:31], s[8:9], v[86:87]
	v_mov_b32_e32 v117, v41
	v_mov_b32_e32 v91, v93
	v_pk_add_f32 v[72:73], v[90:91], v[72:73]
	ds_write2_b64 v19, v[48:49], v[72:73] offset0:132 offset1:198
	v_pk_mul_f32 v[48:49], v[36:37], s[22:23]
	v_pk_mul_f32 v[36:37], v[36:37], s[26:27]
	v_pk_fma_f32 v[72:73], v[2:3], s[8:9], v[48:49] neg_lo:[1,0,0] neg_hi:[1,0,0]
	v_pk_fma_f32 v[90:91], v[2:3], s[8:9], v[48:49]
	v_pk_fma_f32 v[112:113], v[2:3], s[10:11], v[36:37]
	v_mov_b32_e32 v73, v91
	v_pk_add_f32 v[72:73], v[72:73], v[0:1]
	v_pk_fma_f32 v[34:35], v[2:3], s[4:5], v[34:35] neg_lo:[0,0,1] neg_hi:[0,0,1]
	v_pk_add_f32 v[72:73], v[96:97], v[72:73]
	v_pk_mul_f32 v[96:97], v[42:43], s[12:13]
	v_pk_mul_f32 v[42:43], v[42:43], s[22:23]
	v_pk_fma_f32 v[100:101], v[14:15], s[2:3], v[96:97] neg_lo:[1,0,0] neg_hi:[1,0,0]
	v_pk_fma_f32 v[102:103], v[14:15], s[2:3], v[96:97]
	v_pk_fma_f32 v[118:119], v[14:15], s[8:9], v[42:43]
	v_mov_b32_e32 v101, v103
	v_pk_add_f32 v[72:73], v[100:101], v[72:73]
	v_pk_mul_f32 v[100:101], v[38:39], s[26:27]
	v_pk_mul_f32 v[38:39], v[38:39], s[34:35]
	v_pk_fma_f32 v[104:105], v[24:25], s[10:11], v[100:101] neg_lo:[1,0,0] neg_hi:[1,0,0]
	v_pk_fma_f32 v[106:107], v[24:25], s[10:11], v[100:101]
	v_pk_fma_f32 v[120:121], v[24:25], s[24:25], v[38:39]
	v_mov_b32_e32 v105, v107
	;; [unrolled: 7-line block ×3, first 2 shown]
	v_pk_add_f32 v[72:73], v[108:109], v[72:73]
	v_pk_fma_f32 v[108:109], v[2:3], s[10:11], v[36:37] neg_lo:[1,0,0] neg_hi:[1,0,0]
	v_pk_fma_f32 v[36:37], v[2:3], s[10:11], v[36:37] neg_lo:[0,0,1] neg_hi:[0,0,1]
	v_mov_b32_e32 v109, v113
	v_pk_add_f32 v[108:109], v[108:109], v[0:1]
	v_pk_fma_f32 v[40:41], v[14:15], s[8:9], v[42:43] neg_lo:[0,0,1] neg_hi:[0,0,1]
	v_pk_add_f32 v[108:109], v[114:115], v[108:109]
	v_pk_fma_f32 v[114:115], v[14:15], s[8:9], v[42:43] neg_lo:[1,0,0] neg_hi:[1,0,0]
	v_mov_b32_e32 v113, v37
	v_mov_b32_e32 v115, v119
	v_pk_add_f32 v[108:109], v[114:115], v[108:109]
	v_pk_fma_f32 v[114:115], v[24:25], s[24:25], v[38:39] neg_lo:[1,0,0] neg_hi:[1,0,0]
	v_pk_fma_f32 v[38:39], v[24:25], s[24:25], v[38:39] neg_lo:[0,0,1] neg_hi:[0,0,1]
	v_mov_b32_e32 v115, v121
	v_pk_add_f32 v[108:109], v[114:115], v[108:109]
	v_pk_fma_f32 v[114:115], v[30:31], s[6:7], v[44:45] neg_lo:[1,0,0] neg_hi:[1,0,0]
	v_mov_b32_e32 v121, v39
	v_pk_fma_f32 v[38:39], v[30:31], s[6:7], v[44:45] neg_lo:[0,0,1] neg_hi:[0,0,1]
	v_mov_b32_e32 v115, v123
	v_mov_b32_e32 v123, v39
	v_pk_fma_f32 v[38:39], v[2:3], s[8:9], v[48:49] neg_lo:[0,0,1] neg_hi:[0,0,1]
	v_mov_b32_e32 v119, v41
	v_mov_b32_e32 v91, v39
	v_pk_fma_f32 v[40:41], v[8:9], s[16:17], v[94:95] neg_lo:[0,0,1] neg_hi:[0,0,1]
	v_pk_add_f32 v[36:37], v[112:113], v[0:1]
	v_pk_add_f32 v[38:39], v[90:91], v[0:1]
	v_mov_b32_e32 v99, v41
	v_pk_fma_f32 v[40:41], v[14:15], s[2:3], v[96:97] neg_lo:[0,0,1] neg_hi:[0,0,1]
	v_pk_add_f32 v[36:37], v[116:117], v[36:37]
	v_pk_add_f32 v[38:39], v[98:99], v[38:39]
	;; [unrolled: 4-line block ×4, first 2 shown]
	v_mov_b32_e32 v111, v41
	v_pk_add_f32 v[36:37], v[122:123], v[36:37]
	v_pk_add_f32 v[38:39], v[110:111], v[38:39]
	ds_write2_b64 v33, v[36:37], v[38:39] offset0:140 offset1:206
	v_pk_fma_f32 v[38:39], v[8:9], s[14:15], v[76:77] neg_lo:[0,0,1] neg_hi:[0,0,1]
	v_pk_fma_f32 v[36:37], v[2:3], s[6:7], v[68:69] neg_lo:[0,0,1] neg_hi:[0,0,1]
	v_mov_b32_e32 v81, v39
	v_pk_fma_f32 v[38:39], v[14:15], s[24:25], v[78:79] neg_lo:[0,0,1] neg_hi:[0,0,1]
	v_pk_fma_f32 v[2:3], v[2:3], s[2:3], v[6:7] neg_lo:[0,0,1] neg_hi:[0,0,1]
	v_mov_b32_e32 v85, v39
	v_pk_fma_f32 v[38:39], v[24:25], s[2:3], v[82:83] neg_lo:[0,0,1] neg_hi:[0,0,1]
	v_mov_b32_e32 v75, v37
	v_mov_b32_e32 v89, v39
	v_pk_fma_f32 v[38:39], v[30:31], s[8:9], v[86:87] neg_lo:[0,0,1] neg_hi:[0,0,1]
	v_mov_b32_e32 v51, v35
	;; [unrolled: 3-line block ×3, first 2 shown]
	v_pk_fma_f32 v[2:3], v[8:9], s[4:5], v[12:13] neg_lo:[0,0,1] neg_hi:[0,0,1]
	v_pk_add_f32 v[36:37], v[74:75], v[0:1]
	v_pk_add_f32 v[34:35], v[50:51], v[0:1]
	v_mov_b32_e32 v59, v39
	v_pk_fma_f32 v[38:39], v[14:15], s[14:15], v[56:57] neg_lo:[0,0,1] neg_hi:[0,0,1]
	v_pk_add_f32 v[0:1], v[4:5], v[0:1]
	v_mov_b32_e32 v11, v3
	v_pk_fma_f32 v[2:3], v[14:15], s[6:7], v[22:23] neg_lo:[0,0,1] neg_hi:[0,0,1]
	v_pk_add_f32 v[36:37], v[80:81], v[36:37]
	v_pk_add_f32 v[34:35], v[58:59], v[34:35]
	v_mov_b32_e32 v63, v39
	v_pk_fma_f32 v[38:39], v[24:25], s[16:17], v[60:61] neg_lo:[0,0,1] neg_hi:[0,0,1]
	v_pk_add_f32 v[0:1], v[10:11], v[0:1]
	v_mov_b32_e32 v21, v3
	;; [unrolled: 7-line block ×3, first 2 shown]
	v_pk_fma_f32 v[2:3], v[30:31], s[10:11], v[46:47] neg_lo:[0,0,1] neg_hi:[0,0,1]
	v_pk_add_f32 v[36:37], v[88:89], v[36:37]
	v_pk_add_f32 v[34:35], v[66:67], v[34:35]
	v_mov_b32_e32 v71, v39
	v_pk_add_f32 v[0:1], v[26:27], v[0:1]
	v_mov_b32_e32 v53, v3
	v_pk_add_f32 v[108:109], v[114:115], v[108:109]
	v_pk_add_f32 v[36:37], v[92:93], v[36:37]
	;; [unrolled: 1-line block ×4, first 2 shown]
	ds_write2_b64 v33, v[72:73], v[108:109] offset0:8 offset1:74
	ds_write2_b64 v124, v[36:37], v[34:35] offset0:16 offset1:82
	ds_write_b64 v19, v[0:1] offset:5280
	s_waitcnt lgkmcnt(0)
	s_barrier
	s_and_saveexec_b64 s[2:3], s[0:1]
	s_cbranch_execz .LBB0_25
; %bb.24:
	v_lshl_add_u32 v8, v18, 3, v32
	ds_read2_b64 v[0:3], v8 offset1:66
	v_mov_b32_e32 v19, 0
	v_add_u32_e32 v4, 0x42, v18
	v_lshl_add_u64 v[6:7], v[18:19], 3, v[16:17]
	v_mov_b32_e32 v5, v19
	s_waitcnt lgkmcnt(0)
	global_store_dwordx2 v[6:7], v[0:1], off
	v_lshl_add_u64 v[0:1], v[4:5], 3, v[16:17]
	ds_read2_b64 v[4:7], v8 offset0:132 offset1:198
	global_store_dwordx2 v[0:1], v[2:3], off
	v_add_u32_e32 v0, 0x84, v18
	v_mov_b32_e32 v1, v19
	v_lshl_add_u64 v[0:1], v[0:1], 3, v[16:17]
	s_waitcnt lgkmcnt(0)
	global_store_dwordx2 v[0:1], v[4:5], off
	v_add_u32_e32 v0, 0xc6, v18
	v_mov_b32_e32 v1, v19
	v_add_u32_e32 v9, 0x800, v8
	v_lshl_add_u64 v[4:5], v[0:1], 3, v[16:17]
	ds_read2_b64 v[0:3], v9 offset0:8 offset1:74
	global_store_dwordx2 v[4:5], v[6:7], off
	v_add_u32_e32 v4, 0x108, v18
	v_mov_b32_e32 v5, v19
	v_lshl_add_u64 v[4:5], v[4:5], 3, v[16:17]
	s_waitcnt lgkmcnt(0)
	global_store_dwordx2 v[4:5], v[0:1], off
	ds_read2_b64 v[4:7], v9 offset0:140 offset1:206
	v_add_u32_e32 v0, 0x14a, v18
	v_mov_b32_e32 v1, v19
	v_lshl_add_u64 v[0:1], v[0:1], 3, v[16:17]
	global_store_dwordx2 v[0:1], v[2:3], off
	v_add_u32_e32 v0, 0x18c, v18
	v_mov_b32_e32 v1, v19
	v_lshl_add_u64 v[0:1], v[0:1], 3, v[16:17]
	s_waitcnt lgkmcnt(0)
	global_store_dwordx2 v[0:1], v[4:5], off
	v_add_u32_e32 v0, 0x1ce, v18
	v_mov_b32_e32 v1, v19
	v_lshl_add_u64 v[4:5], v[0:1], 3, v[16:17]
	v_add_u32_e32 v0, 0x1000, v8
	ds_read2_b64 v[0:3], v0 offset0:16 offset1:82
	global_store_dwordx2 v[4:5], v[6:7], off
	v_add_u32_e32 v4, 0x210, v18
	v_mov_b32_e32 v5, v19
	v_lshl_add_u64 v[4:5], v[4:5], 3, v[16:17]
	s_waitcnt lgkmcnt(0)
	global_store_dwordx2 v[4:5], v[0:1], off
	ds_read_b64 v[4:5], v8 offset:5280
	v_add_u32_e32 v0, 0x252, v18
	v_mov_b32_e32 v1, v19
	v_lshl_add_u64 v[0:1], v[0:1], 3, v[16:17]
	v_add_u32_e32 v18, 0x294, v18
	global_store_dwordx2 v[0:1], v[2:3], off
	v_lshl_add_u64 v[0:1], v[18:19], 3, v[16:17]
	s_waitcnt lgkmcnt(0)
	global_store_dwordx2 v[0:1], v[4:5], off
.LBB0_25:
	s_endpgm
	.section	.rodata,"a",@progbits
	.p2align	6, 0x0
	.amdhsa_kernel fft_rtc_fwd_len726_factors_11_6_11_wgs_132_tpt_66_sp_ip_CI_unitstride_sbrr_C2R_dirReg
		.amdhsa_group_segment_fixed_size 0
		.amdhsa_private_segment_fixed_size 0
		.amdhsa_kernarg_size 88
		.amdhsa_user_sgpr_count 2
		.amdhsa_user_sgpr_dispatch_ptr 0
		.amdhsa_user_sgpr_queue_ptr 0
		.amdhsa_user_sgpr_kernarg_segment_ptr 1
		.amdhsa_user_sgpr_dispatch_id 0
		.amdhsa_user_sgpr_kernarg_preload_length 0
		.amdhsa_user_sgpr_kernarg_preload_offset 0
		.amdhsa_user_sgpr_private_segment_size 0
		.amdhsa_uses_dynamic_stack 0
		.amdhsa_enable_private_segment 0
		.amdhsa_system_sgpr_workgroup_id_x 1
		.amdhsa_system_sgpr_workgroup_id_y 0
		.amdhsa_system_sgpr_workgroup_id_z 0
		.amdhsa_system_sgpr_workgroup_info 0
		.amdhsa_system_vgpr_workitem_id 0
		.amdhsa_next_free_vgpr 125
		.amdhsa_next_free_sgpr 36
		.amdhsa_accum_offset 128
		.amdhsa_reserve_vcc 1
		.amdhsa_float_round_mode_32 0
		.amdhsa_float_round_mode_16_64 0
		.amdhsa_float_denorm_mode_32 3
		.amdhsa_float_denorm_mode_16_64 3
		.amdhsa_dx10_clamp 1
		.amdhsa_ieee_mode 1
		.amdhsa_fp16_overflow 0
		.amdhsa_tg_split 0
		.amdhsa_exception_fp_ieee_invalid_op 0
		.amdhsa_exception_fp_denorm_src 0
		.amdhsa_exception_fp_ieee_div_zero 0
		.amdhsa_exception_fp_ieee_overflow 0
		.amdhsa_exception_fp_ieee_underflow 0
		.amdhsa_exception_fp_ieee_inexact 0
		.amdhsa_exception_int_div_zero 0
	.end_amdhsa_kernel
	.text
.Lfunc_end0:
	.size	fft_rtc_fwd_len726_factors_11_6_11_wgs_132_tpt_66_sp_ip_CI_unitstride_sbrr_C2R_dirReg, .Lfunc_end0-fft_rtc_fwd_len726_factors_11_6_11_wgs_132_tpt_66_sp_ip_CI_unitstride_sbrr_C2R_dirReg
                                        ; -- End function
	.section	.AMDGPU.csdata,"",@progbits
; Kernel info:
; codeLenInByte = 8452
; NumSgprs: 42
; NumVgprs: 125
; NumAgprs: 0
; TotalNumVgprs: 125
; ScratchSize: 0
; MemoryBound: 0
; FloatMode: 240
; IeeeMode: 1
; LDSByteSize: 0 bytes/workgroup (compile time only)
; SGPRBlocks: 5
; VGPRBlocks: 15
; NumSGPRsForWavesPerEU: 42
; NumVGPRsForWavesPerEU: 125
; AccumOffset: 128
; Occupancy: 4
; WaveLimiterHint : 1
; COMPUTE_PGM_RSRC2:SCRATCH_EN: 0
; COMPUTE_PGM_RSRC2:USER_SGPR: 2
; COMPUTE_PGM_RSRC2:TRAP_HANDLER: 0
; COMPUTE_PGM_RSRC2:TGID_X_EN: 1
; COMPUTE_PGM_RSRC2:TGID_Y_EN: 0
; COMPUTE_PGM_RSRC2:TGID_Z_EN: 0
; COMPUTE_PGM_RSRC2:TIDIG_COMP_CNT: 0
; COMPUTE_PGM_RSRC3_GFX90A:ACCUM_OFFSET: 31
; COMPUTE_PGM_RSRC3_GFX90A:TG_SPLIT: 0
	.text
	.p2alignl 6, 3212836864
	.fill 256, 4, 3212836864
	.type	__hip_cuid_2a96728ab3c0ca69,@object ; @__hip_cuid_2a96728ab3c0ca69
	.section	.bss,"aw",@nobits
	.globl	__hip_cuid_2a96728ab3c0ca69
__hip_cuid_2a96728ab3c0ca69:
	.byte	0                               ; 0x0
	.size	__hip_cuid_2a96728ab3c0ca69, 1

	.ident	"AMD clang version 19.0.0git (https://github.com/RadeonOpenCompute/llvm-project roc-6.4.0 25133 c7fe45cf4b819c5991fe208aaa96edf142730f1d)"
	.section	".note.GNU-stack","",@progbits
	.addrsig
	.addrsig_sym __hip_cuid_2a96728ab3c0ca69
	.amdgpu_metadata
---
amdhsa.kernels:
  - .agpr_count:     0
    .args:
      - .actual_access:  read_only
        .address_space:  global
        .offset:         0
        .size:           8
        .value_kind:     global_buffer
      - .offset:         8
        .size:           8
        .value_kind:     by_value
      - .actual_access:  read_only
        .address_space:  global
        .offset:         16
        .size:           8
        .value_kind:     global_buffer
      - .actual_access:  read_only
        .address_space:  global
        .offset:         24
        .size:           8
        .value_kind:     global_buffer
      - .offset:         32
        .size:           8
        .value_kind:     by_value
      - .actual_access:  read_only
        .address_space:  global
        .offset:         40
        .size:           8
        .value_kind:     global_buffer
      - .actual_access:  read_only
        .address_space:  global
        .offset:         48
        .size:           8
        .value_kind:     global_buffer
      - .offset:         56
        .size:           4
        .value_kind:     by_value
      - .actual_access:  read_only
        .address_space:  global
        .offset:         64
        .size:           8
        .value_kind:     global_buffer
      - .actual_access:  read_only
        .address_space:  global
        .offset:         72
        .size:           8
        .value_kind:     global_buffer
      - .address_space:  global
        .offset:         80
        .size:           8
        .value_kind:     global_buffer
    .group_segment_fixed_size: 0
    .kernarg_segment_align: 8
    .kernarg_segment_size: 88
    .language:       OpenCL C
    .language_version:
      - 2
      - 0
    .max_flat_workgroup_size: 132
    .name:           fft_rtc_fwd_len726_factors_11_6_11_wgs_132_tpt_66_sp_ip_CI_unitstride_sbrr_C2R_dirReg
    .private_segment_fixed_size: 0
    .sgpr_count:     42
    .sgpr_spill_count: 0
    .symbol:         fft_rtc_fwd_len726_factors_11_6_11_wgs_132_tpt_66_sp_ip_CI_unitstride_sbrr_C2R_dirReg.kd
    .uniform_work_group_size: 1
    .uses_dynamic_stack: false
    .vgpr_count:     125
    .vgpr_spill_count: 0
    .wavefront_size: 64
amdhsa.target:   amdgcn-amd-amdhsa--gfx950
amdhsa.version:
  - 1
  - 2
...

	.end_amdgpu_metadata
